;; amdgpu-corpus repo=ROCm/rocFFT kind=compiled arch=gfx906 opt=O3
	.text
	.amdgcn_target "amdgcn-amd-amdhsa--gfx906"
	.amdhsa_code_object_version 6
	.protected	fft_rtc_back_len768_factors_16_3_16_wgs_48_tpt_48_halfLds_half_op_CI_CI_sbrr_dirReg ; -- Begin function fft_rtc_back_len768_factors_16_3_16_wgs_48_tpt_48_halfLds_half_op_CI_CI_sbrr_dirReg
	.globl	fft_rtc_back_len768_factors_16_3_16_wgs_48_tpt_48_halfLds_half_op_CI_CI_sbrr_dirReg
	.p2align	8
	.type	fft_rtc_back_len768_factors_16_3_16_wgs_48_tpt_48_halfLds_half_op_CI_CI_sbrr_dirReg,@function
fft_rtc_back_len768_factors_16_3_16_wgs_48_tpt_48_halfLds_half_op_CI_CI_sbrr_dirReg: ; @fft_rtc_back_len768_factors_16_3_16_wgs_48_tpt_48_halfLds_half_op_CI_CI_sbrr_dirReg
; %bb.0:
	s_load_dwordx4 s[16:19], s[4:5], 0x18
	s_load_dwordx4 s[12:15], s[4:5], 0x0
	;; [unrolled: 1-line block ×3, first 2 shown]
	v_mul_u32_u24_e32 v1, 0x556, v0
	v_mov_b32_e32 v7, 0
	s_waitcnt lgkmcnt(0)
	s_load_dwordx2 s[20:21], s[16:17], 0x0
	s_load_dwordx2 s[2:3], s[18:19], 0x0
	v_cmp_lt_u64_e64 s[0:1], s[14:15], 2
	v_mov_b32_e32 v5, 0
	v_add_u32_sdwa v9, s6, v1 dst_sel:DWORD dst_unused:UNUSED_PAD src0_sel:DWORD src1_sel:WORD_1
	v_mov_b32_e32 v10, v7
	s_and_b64 vcc, exec, s[0:1]
	v_mov_b32_e32 v6, 0
	s_cbranch_vccnz .LBB0_8
; %bb.1:
	s_load_dwordx2 s[0:1], s[4:5], 0x10
	s_add_u32 s6, s18, 8
	s_addc_u32 s7, s19, 0
	s_add_u32 s22, s16, 8
	s_addc_u32 s23, s17, 0
	v_mov_b32_e32 v5, 0
	s_waitcnt lgkmcnt(0)
	s_add_u32 s24, s0, 8
	v_mov_b32_e32 v6, 0
	v_mov_b32_e32 v1, v5
	s_addc_u32 s25, s1, 0
	s_mov_b64 s[26:27], 1
	v_mov_b32_e32 v2, v6
.LBB0_2:                                ; =>This Inner Loop Header: Depth=1
	s_load_dwordx2 s[28:29], s[24:25], 0x0
                                        ; implicit-def: $vgpr3_vgpr4
	s_waitcnt lgkmcnt(0)
	v_or_b32_e32 v8, s29, v10
	v_cmp_ne_u64_e32 vcc, 0, v[7:8]
	s_and_saveexec_b64 s[0:1], vcc
	s_xor_b64 s[30:31], exec, s[0:1]
	s_cbranch_execz .LBB0_4
; %bb.3:                                ;   in Loop: Header=BB0_2 Depth=1
	v_cvt_f32_u32_e32 v3, s28
	v_cvt_f32_u32_e32 v4, s29
	s_sub_u32 s0, 0, s28
	s_subb_u32 s1, 0, s29
	v_mac_f32_e32 v3, 0x4f800000, v4
	v_rcp_f32_e32 v3, v3
	v_mul_f32_e32 v3, 0x5f7ffffc, v3
	v_mul_f32_e32 v4, 0x2f800000, v3
	v_trunc_f32_e32 v4, v4
	v_mac_f32_e32 v3, 0xcf800000, v4
	v_cvt_u32_f32_e32 v4, v4
	v_cvt_u32_f32_e32 v3, v3
	v_mul_lo_u32 v8, s0, v4
	v_mul_hi_u32 v11, s0, v3
	v_mul_lo_u32 v13, s1, v3
	v_mul_lo_u32 v12, s0, v3
	v_add_u32_e32 v8, v11, v8
	v_add_u32_e32 v8, v8, v13
	v_mul_hi_u32 v11, v3, v12
	v_mul_lo_u32 v13, v3, v8
	v_mul_hi_u32 v15, v3, v8
	v_mul_hi_u32 v14, v4, v12
	v_mul_lo_u32 v12, v4, v12
	v_mul_hi_u32 v16, v4, v8
	v_add_co_u32_e32 v11, vcc, v11, v13
	v_addc_co_u32_e32 v13, vcc, 0, v15, vcc
	v_mul_lo_u32 v8, v4, v8
	v_add_co_u32_e32 v11, vcc, v11, v12
	v_addc_co_u32_e32 v11, vcc, v13, v14, vcc
	v_addc_co_u32_e32 v12, vcc, 0, v16, vcc
	v_add_co_u32_e32 v8, vcc, v11, v8
	v_addc_co_u32_e32 v11, vcc, 0, v12, vcc
	v_add_co_u32_e32 v3, vcc, v3, v8
	v_addc_co_u32_e32 v4, vcc, v4, v11, vcc
	v_mul_lo_u32 v8, s0, v4
	v_mul_hi_u32 v11, s0, v3
	v_mul_lo_u32 v12, s1, v3
	v_mul_lo_u32 v13, s0, v3
	v_add_u32_e32 v8, v11, v8
	v_add_u32_e32 v8, v8, v12
	v_mul_lo_u32 v14, v3, v8
	v_mul_hi_u32 v15, v3, v13
	v_mul_hi_u32 v16, v3, v8
	;; [unrolled: 1-line block ×3, first 2 shown]
	v_mul_lo_u32 v13, v4, v13
	v_mul_hi_u32 v11, v4, v8
	v_add_co_u32_e32 v14, vcc, v15, v14
	v_addc_co_u32_e32 v15, vcc, 0, v16, vcc
	v_mul_lo_u32 v8, v4, v8
	v_add_co_u32_e32 v13, vcc, v14, v13
	v_addc_co_u32_e32 v12, vcc, v15, v12, vcc
	v_addc_co_u32_e32 v11, vcc, 0, v11, vcc
	v_add_co_u32_e32 v8, vcc, v12, v8
	v_addc_co_u32_e32 v11, vcc, 0, v11, vcc
	v_add_co_u32_e32 v8, vcc, v3, v8
	v_addc_co_u32_e32 v11, vcc, v4, v11, vcc
	v_mad_u64_u32 v[3:4], s[0:1], v9, v11, 0
	v_mul_hi_u32 v12, v9, v8
	v_add_co_u32_e32 v13, vcc, v12, v3
	v_addc_co_u32_e32 v14, vcc, 0, v4, vcc
	v_mad_u64_u32 v[3:4], s[0:1], v10, v8, 0
	v_mad_u64_u32 v[11:12], s[0:1], v10, v11, 0
	v_add_co_u32_e32 v3, vcc, v13, v3
	v_addc_co_u32_e32 v3, vcc, v14, v4, vcc
	v_addc_co_u32_e32 v4, vcc, 0, v12, vcc
	v_add_co_u32_e32 v8, vcc, v3, v11
	v_addc_co_u32_e32 v11, vcc, 0, v4, vcc
	v_mul_lo_u32 v12, s29, v8
	v_mul_lo_u32 v13, s28, v11
	v_mad_u64_u32 v[3:4], s[0:1], s28, v8, 0
	v_add3_u32 v4, v4, v13, v12
	v_sub_u32_e32 v12, v10, v4
	v_mov_b32_e32 v13, s29
	v_sub_co_u32_e32 v3, vcc, v9, v3
	v_subb_co_u32_e64 v12, s[0:1], v12, v13, vcc
	v_subrev_co_u32_e64 v13, s[0:1], s28, v3
	v_subbrev_co_u32_e64 v12, s[0:1], 0, v12, s[0:1]
	v_cmp_le_u32_e64 s[0:1], s29, v12
	v_cndmask_b32_e64 v14, 0, -1, s[0:1]
	v_cmp_le_u32_e64 s[0:1], s28, v13
	v_cndmask_b32_e64 v13, 0, -1, s[0:1]
	v_cmp_eq_u32_e64 s[0:1], s29, v12
	v_cndmask_b32_e64 v12, v14, v13, s[0:1]
	v_add_co_u32_e64 v13, s[0:1], 2, v8
	v_addc_co_u32_e64 v14, s[0:1], 0, v11, s[0:1]
	v_add_co_u32_e64 v15, s[0:1], 1, v8
	v_addc_co_u32_e64 v16, s[0:1], 0, v11, s[0:1]
	v_subb_co_u32_e32 v4, vcc, v10, v4, vcc
	v_cmp_ne_u32_e64 s[0:1], 0, v12
	v_cmp_le_u32_e32 vcc, s29, v4
	v_cndmask_b32_e64 v12, v16, v14, s[0:1]
	v_cndmask_b32_e64 v14, 0, -1, vcc
	v_cmp_le_u32_e32 vcc, s28, v3
	v_cndmask_b32_e64 v3, 0, -1, vcc
	v_cmp_eq_u32_e32 vcc, s29, v4
	v_cndmask_b32_e32 v3, v14, v3, vcc
	v_cmp_ne_u32_e32 vcc, 0, v3
	v_cndmask_b32_e64 v3, v15, v13, s[0:1]
	v_cndmask_b32_e32 v4, v11, v12, vcc
	v_cndmask_b32_e32 v3, v8, v3, vcc
.LBB0_4:                                ;   in Loop: Header=BB0_2 Depth=1
	s_andn2_saveexec_b64 s[0:1], s[30:31]
	s_cbranch_execz .LBB0_6
; %bb.5:                                ;   in Loop: Header=BB0_2 Depth=1
	v_cvt_f32_u32_e32 v3, s28
	s_sub_i32 s30, 0, s28
	v_rcp_iflag_f32_e32 v3, v3
	v_mul_f32_e32 v3, 0x4f7ffffe, v3
	v_cvt_u32_f32_e32 v3, v3
	v_mul_lo_u32 v4, s30, v3
	v_mul_hi_u32 v4, v3, v4
	v_add_u32_e32 v3, v3, v4
	v_mul_hi_u32 v3, v9, v3
	v_mul_lo_u32 v4, v3, s28
	v_add_u32_e32 v8, 1, v3
	v_sub_u32_e32 v4, v9, v4
	v_subrev_u32_e32 v11, s28, v4
	v_cmp_le_u32_e32 vcc, s28, v4
	v_cndmask_b32_e32 v4, v4, v11, vcc
	v_cndmask_b32_e32 v3, v3, v8, vcc
	v_add_u32_e32 v8, 1, v3
	v_cmp_le_u32_e32 vcc, s28, v4
	v_cndmask_b32_e32 v3, v3, v8, vcc
	v_mov_b32_e32 v4, v7
.LBB0_6:                                ;   in Loop: Header=BB0_2 Depth=1
	s_or_b64 exec, exec, s[0:1]
	v_mul_lo_u32 v8, v4, s28
	v_mul_lo_u32 v13, v3, s29
	v_mad_u64_u32 v[11:12], s[0:1], v3, s28, 0
	s_load_dwordx2 s[0:1], s[22:23], 0x0
	s_load_dwordx2 s[28:29], s[6:7], 0x0
	v_add3_u32 v8, v12, v13, v8
	v_sub_co_u32_e32 v9, vcc, v9, v11
	v_subb_co_u32_e32 v8, vcc, v10, v8, vcc
	s_waitcnt lgkmcnt(0)
	v_mul_lo_u32 v10, s0, v8
	v_mul_lo_u32 v11, s1, v9
	v_mad_u64_u32 v[5:6], s[0:1], s0, v9, v[5:6]
	v_mul_lo_u32 v8, s28, v8
	v_mul_lo_u32 v12, s29, v9
	v_mad_u64_u32 v[1:2], s[0:1], s28, v9, v[1:2]
	s_add_u32 s26, s26, 1
	s_addc_u32 s27, s27, 0
	s_add_u32 s6, s6, 8
	v_add3_u32 v2, v12, v2, v8
	s_addc_u32 s7, s7, 0
	v_mov_b32_e32 v8, s14
	s_add_u32 s22, s22, 8
	v_mov_b32_e32 v9, s15
	s_addc_u32 s23, s23, 0
	v_cmp_ge_u64_e32 vcc, s[26:27], v[8:9]
	s_add_u32 s24, s24, 8
	v_add3_u32 v6, v11, v6, v10
	s_addc_u32 s25, s25, 0
	s_cbranch_vccnz .LBB0_9
; %bb.7:                                ;   in Loop: Header=BB0_2 Depth=1
	v_mov_b32_e32 v10, v4
	v_mov_b32_e32 v9, v3
	s_branch .LBB0_2
.LBB0_8:
	v_mov_b32_e32 v1, v5
	v_mov_b32_e32 v3, v9
	;; [unrolled: 1-line block ×4, first 2 shown]
.LBB0_9:
	s_load_dwordx2 s[0:1], s[4:5], 0x28
	s_lshl_b64 s[14:15], s[14:15], 3
	s_add_u32 s4, s18, s14
	s_addc_u32 s5, s19, s15
                                        ; implicit-def: $sgpr18
                                        ; implicit-def: $vgpr8
                                        ; implicit-def: $vgpr9
                                        ; implicit-def: $vgpr10
                                        ; implicit-def: $vgpr11
                                        ; implicit-def: $vgpr12
                                        ; implicit-def: $vgpr13
	s_waitcnt lgkmcnt(0)
	v_cmp_gt_u64_e32 vcc, s[0:1], v[3:4]
	v_cmp_le_u64_e64 s[0:1], s[0:1], v[3:4]
	s_and_saveexec_b64 s[6:7], s[0:1]
	s_xor_b64 s[0:1], exec, s[6:7]
; %bb.10:
	s_mov_b32 s6, 0x5555556
	v_mul_hi_u32 v5, v0, s6
	s_mov_b32 s18, 0
	v_mul_u32_u24_e32 v5, 48, v5
	v_sub_u32_e32 v8, v0, v5
	v_add_u32_e32 v9, 48, v8
	v_add_u32_e32 v10, 0x60, v8
	;; [unrolled: 1-line block ×3, first 2 shown]
	v_or_b32_e32 v12, 0xc0, v8
	v_add_u32_e32 v13, 0xf0, v8
                                        ; implicit-def: $vgpr0
                                        ; implicit-def: $vgpr5_vgpr6
; %bb.11:
	s_or_saveexec_b64 s[6:7], s[0:1]
	v_mov_b32_e32 v7, s18
	v_mov_b32_e32 v17, s18
	;; [unrolled: 1-line block ×9, first 2 shown]
                                        ; implicit-def: $vgpr18
                                        ; implicit-def: $vgpr20
                                        ; implicit-def: $vgpr29
                                        ; implicit-def: $vgpr15
                                        ; implicit-def: $vgpr37
                                        ; implicit-def: $vgpr22
                                        ; implicit-def: $vgpr28
                                        ; implicit-def: $vgpr14
                                        ; implicit-def: $vgpr25
                                        ; implicit-def: $vgpr24
                                        ; implicit-def: $vgpr33
                                        ; implicit-def: $vgpr19
                                        ; implicit-def: $vgpr38
                                        ; implicit-def: $vgpr23
                                        ; implicit-def: $vgpr32
                                        ; implicit-def: $vgpr16
	s_xor_b64 exec, exec, s[6:7]
	s_cbranch_execz .LBB0_13
; %bb.12:
	s_add_u32 s0, s16, s14
	s_addc_u32 s1, s17, s15
	s_mov_b32 s14, 0x5555556
	v_mul_hi_u32 v7, v0, s14
	s_load_dwordx2 s[0:1], s[0:1], 0x0
	v_lshlrev_b64 v[5:6], 2, v[5:6]
	v_mul_u32_u24_e32 v7, 48, v7
	v_sub_u32_e32 v8, v0, v7
	s_waitcnt lgkmcnt(0)
	v_mul_lo_u32 v7, s1, v3
	v_mul_lo_u32 v9, s0, v4
	v_mad_u64_u32 v[12:13], s[0:1], s0, v3, 0
	v_mad_u64_u32 v[10:11], s[14:15], s20, v8, 0
	v_add3_u32 v13, v13, v9, v7
	v_lshlrev_b64 v[12:13], 2, v[12:13]
	v_mov_b32_e32 v0, v11
	v_mad_u64_u32 v[14:15], s[0:1], s21, v8, v[0:1]
	v_mov_b32_e32 v0, s9
	v_add_co_u32_e64 v7, s[0:1], s8, v12
	v_add_u32_e32 v9, 48, v8
	v_addc_co_u32_e64 v0, s[0:1], v0, v13, s[0:1]
	v_mad_u64_u32 v[12:13], s[0:1], s20, v9, 0
	v_add_co_u32_e64 v7, s[0:1], v7, v5
	v_mov_b32_e32 v11, v14
	v_addc_co_u32_e64 v22, s[0:1], v0, v6, s[0:1]
	v_mov_b32_e32 v0, v13
	v_lshlrev_b64 v[5:6], 2, v[10:11]
	v_mad_u64_u32 v[13:14], s[0:1], s21, v9, v[0:1]
	v_add_u32_e32 v10, 0x60, v8
	v_mad_u64_u32 v[14:15], s[0:1], s20, v10, 0
	v_add_co_u32_e64 v5, s[0:1], v7, v5
	v_mov_b32_e32 v0, v15
	v_addc_co_u32_e64 v6, s[0:1], v22, v6, s[0:1]
	v_mad_u64_u32 v[15:16], s[0:1], s21, v10, v[0:1]
	v_add_u32_e32 v11, 0x90, v8
	v_mad_u64_u32 v[16:17], s[0:1], s20, v11, 0
	v_lshlrev_b64 v[12:13], 2, v[12:13]
	v_add_co_u32_e64 v28, s[0:1], v7, v12
	v_mov_b32_e32 v0, v17
	v_addc_co_u32_e64 v29, s[0:1], v22, v13, s[0:1]
	v_mad_u64_u32 v[17:18], s[0:1], s21, v11, v[0:1]
	v_or_b32_e32 v12, 0xc0, v8
	v_mad_u64_u32 v[18:19], s[0:1], s20, v12, 0
	v_lshlrev_b64 v[13:14], 2, v[14:15]
	v_add_co_u32_e64 v32, s[0:1], v7, v13
	v_mov_b32_e32 v0, v19
	v_add_u32_e32 v13, 0xf0, v8
	v_addc_co_u32_e64 v33, s[0:1], v22, v14, s[0:1]
	v_lshlrev_b64 v[14:15], 2, v[16:17]
	v_mad_u64_u32 v[16:17], s[0:1], s21, v12, v[0:1]
	v_mad_u64_u32 v[20:21], s[0:1], s20, v13, 0
	v_add_co_u32_e64 v36, s[0:1], v7, v14
	v_mov_b32_e32 v19, v16
	v_mov_b32_e32 v0, v21
	v_addc_co_u32_e64 v37, s[0:1], v22, v15, s[0:1]
	v_lshlrev_b64 v[14:15], 2, v[18:19]
	v_mad_u64_u32 v[16:17], s[0:1], s21, v13, v[0:1]
	v_add_u32_e32 v19, 0x120, v8
	v_mad_u64_u32 v[17:18], s[0:1], s20, v19, 0
	v_add_co_u32_e64 v38, s[0:1], v7, v14
	v_mov_b32_e32 v0, v18
	v_addc_co_u32_e64 v39, s[0:1], v22, v15, s[0:1]
	v_mov_b32_e32 v21, v16
	v_mad_u64_u32 v[18:19], s[0:1], s21, v19, v[0:1]
	v_add_u32_e32 v16, 0x150, v8
	v_lshlrev_b64 v[14:15], 2, v[20:21]
	v_mad_u64_u32 v[19:20], s[0:1], s20, v16, 0
	v_add_co_u32_e64 v40, s[0:1], v7, v14
	v_mov_b32_e32 v0, v20
	v_addc_co_u32_e64 v41, s[0:1], v22, v15, s[0:1]
	v_lshlrev_b64 v[14:15], 2, v[17:18]
	v_mad_u64_u32 v[16:17], s[0:1], s21, v16, v[0:1]
	v_or_b32_e32 v21, 0x180, v8
	v_mad_u64_u32 v[17:18], s[0:1], s20, v21, 0
	v_add_co_u32_e64 v42, s[0:1], v7, v14
	v_mov_b32_e32 v20, v16
	v_mov_b32_e32 v0, v18
	v_addc_co_u32_e64 v43, s[0:1], v22, v15, s[0:1]
	v_lshlrev_b64 v[14:15], 2, v[19:20]
	v_mad_u64_u32 v[18:19], s[0:1], s21, v21, v[0:1]
	v_add_u32_e32 v16, 0x1b0, v8
	v_mad_u64_u32 v[19:20], s[0:1], s20, v16, 0
	v_add_co_u32_e64 v44, s[0:1], v7, v14
	v_mov_b32_e32 v0, v20
	v_addc_co_u32_e64 v45, s[0:1], v22, v15, s[0:1]
	v_lshlrev_b64 v[14:15], 2, v[17:18]
	v_mad_u64_u32 v[16:17], s[0:1], s21, v16, v[0:1]
	v_add_u32_e32 v21, 0x1e0, v8
	v_mad_u64_u32 v[17:18], s[0:1], s20, v21, 0
	v_add_co_u32_e64 v46, s[0:1], v7, v14
	v_mov_b32_e32 v20, v16
	v_mov_b32_e32 v0, v18
	v_addc_co_u32_e64 v47, s[0:1], v22, v15, s[0:1]
	v_lshlrev_b64 v[14:15], 2, v[19:20]
	v_mad_u64_u32 v[18:19], s[0:1], s21, v21, v[0:1]
	v_add_u32_e32 v16, 0x210, v8
	v_mad_u64_u32 v[19:20], s[0:1], s20, v16, 0
	v_add_co_u32_e64 v48, s[0:1], v7, v14
	v_mov_b32_e32 v0, v20
	v_addc_co_u32_e64 v49, s[0:1], v22, v15, s[0:1]
	v_lshlrev_b64 v[14:15], 2, v[17:18]
	v_mad_u64_u32 v[16:17], s[0:1], s21, v16, v[0:1]
	v_or_b32_e32 v21, 0x240, v8
	v_mad_u64_u32 v[17:18], s[0:1], s20, v21, 0
	v_add_co_u32_e64 v50, s[0:1], v7, v14
	v_mov_b32_e32 v20, v16
	v_mov_b32_e32 v0, v18
	v_addc_co_u32_e64 v51, s[0:1], v22, v15, s[0:1]
	v_lshlrev_b64 v[14:15], 2, v[19:20]
	v_mad_u64_u32 v[18:19], s[0:1], s21, v21, v[0:1]
	v_add_u32_e32 v16, 0x270, v8
	v_mad_u64_u32 v[19:20], s[0:1], s20, v16, 0
	v_add_co_u32_e64 v52, s[0:1], v7, v14
	v_mov_b32_e32 v0, v20
	v_addc_co_u32_e64 v53, s[0:1], v22, v15, s[0:1]
	v_lshlrev_b64 v[14:15], 2, v[17:18]
	v_mad_u64_u32 v[16:17], s[0:1], s21, v16, v[0:1]
	v_add_u32_e32 v21, 0x2a0, v8
	v_mad_u64_u32 v[17:18], s[0:1], s20, v21, 0
	v_add_co_u32_e64 v54, s[0:1], v7, v14
	v_mov_b32_e32 v20, v16
	v_mov_b32_e32 v0, v18
	v_addc_co_u32_e64 v55, s[0:1], v22, v15, s[0:1]
	v_lshlrev_b64 v[14:15], 2, v[19:20]
	v_mad_u64_u32 v[18:19], s[0:1], s21, v21, v[0:1]
	v_add_u32_e32 v16, 0x2d0, v8
	v_mad_u64_u32 v[19:20], s[0:1], s20, v16, 0
	v_add_co_u32_e64 v56, s[0:1], v7, v14
	v_mov_b32_e32 v0, v20
	v_addc_co_u32_e64 v57, s[0:1], v22, v15, s[0:1]
	v_lshlrev_b64 v[14:15], 2, v[17:18]
	v_mad_u64_u32 v[16:17], s[0:1], s21, v16, v[0:1]
	v_add_co_u32_e64 v58, s[0:1], v7, v14
	v_mov_b32_e32 v20, v16
	v_addc_co_u32_e64 v59, s[0:1], v22, v15, s[0:1]
	v_lshlrev_b64 v[14:15], 2, v[19:20]
	v_add_co_u32_e64 v60, s[0:1], v7, v14
	v_addc_co_u32_e64 v61, s[0:1], v22, v15, s[0:1]
	global_load_dword v20, v[46:47], off
	global_load_dword v15, v[48:49], off
	global_load_dword v22, v[50:51], off
	global_load_dword v14, v[52:53], off
	global_load_dword v24, v[54:55], off
	global_load_dword v19, v[56:57], off
	global_load_dword v23, v[58:59], off
	global_load_dword v16, v[60:61], off
	global_load_dword v17, v[5:6], off
	global_load_dword v30, v[28:29], off
	global_load_dword v27, v[32:33], off
	global_load_dword v26, v[36:37], off
	global_load_dword v34, v[38:39], off
	global_load_dword v31, v[40:41], off
	global_load_dword v35, v[42:43], off
                                        ; kill: killed $vgpr36 killed $vgpr37
                                        ; kill: killed $vgpr46 killed $vgpr47
                                        ; kill: killed $vgpr5 killed $vgpr6
                                        ; kill: killed $vgpr32 killed $vgpr33
                                        ; kill: killed $vgpr40 killed $vgpr41
                                        ; kill: killed $vgpr28 killed $vgpr29
                                        ; kill: killed $vgpr48 killed $vgpr49
                                        ; kill: killed $vgpr50 killed $vgpr51
                                        ; kill: killed $vgpr52 killed $vgpr53
                                        ; kill: killed $vgpr54 killed $vgpr55
                                        ; kill: killed $vgpr56 killed $vgpr57
                                        ; kill: killed $vgpr58 killed $vgpr59
                                        ; kill: killed $vgpr60 killed $vgpr61
                                        ; kill: killed $vgpr42 killed $vgpr43
                                        ; kill: killed $vgpr38 killed $vgpr39
	s_nop 0
	global_load_dword v36, v[44:45], off
	v_mov_b32_e32 v7, v8
	s_waitcnt vmcnt(15)
	v_lshrrev_b32_e32 v18, 16, v20
	s_waitcnt vmcnt(14)
	v_lshrrev_b32_e32 v29, 16, v15
	;; [unrolled: 2-line block ×8, first 2 shown]
.LBB0_13:
	s_or_b64 exec, exec, s[6:7]
	s_waitcnt vmcnt(2)
	v_lshrrev_b32_e32 v40, 16, v31
	v_sub_f16_e32 v33, v40, v33
	v_sub_f16_e32 v0, v17, v20
	;; [unrolled: 1-line block ×3, first 2 shown]
	v_lshrrev_b32_e32 v24, 16, v27
	v_fma_f16 v41, v40, 2.0, -v33
	v_lshrrev_b32_e32 v40, 16, v26
	v_lshrrev_b32_e32 v21, 16, v34
	v_fma_f16 v6, v34, 2.0, -v20
	v_sub_f16_e32 v22, v27, v22
	v_sub_f16_e32 v34, v24, v37
	;; [unrolled: 1-line block ×3, first 2 shown]
	v_fma_f16 v37, v27, 2.0, -v22
	v_fma_f16 v27, v24, 2.0, -v34
	s_waitcnt vmcnt(1)
	v_lshrrev_b32_e32 v24, 16, v35
	v_sub_f16_e32 v23, v35, v23
	v_lshrrev_b32_e32 v39, 16, v30
	v_sub_f16_e32 v15, v30, v15
	v_sub_f16_e32 v19, v31, v19
	;; [unrolled: 1-line block ×3, first 2 shown]
	v_fma_f16 v43, v40, 2.0, -v28
	s_waitcnt vmcnt(0)
	v_lshrrev_b32_e32 v40, 16, v36
	v_sub_f16_e32 v16, v36, v16
	v_sub_f16_e32 v38, v24, v38
	v_fma_f16 v35, v35, 2.0, -v23
	v_sub_f16_e32 v29, v39, v29
	v_fma_f16 v30, v30, 2.0, -v15
	v_fma_f16 v31, v31, 2.0, -v19
	;; [unrolled: 1-line block ×3, first 2 shown]
	v_sub_f16_e32 v32, v40, v32
	v_fma_f16 v36, v36, 2.0, -v16
	v_sub_f16_e32 v25, v21, v25
	v_fma_f16 v24, v24, 2.0, -v38
	v_fma_f16 v39, v39, 2.0, -v29
	;; [unrolled: 1-line block ×3, first 2 shown]
	v_sub_f16_e32 v40, v37, v35
	v_sub_f16_e32 v31, v30, v31
	;; [unrolled: 1-line block ×3, first 2 shown]
	v_add_f16_e32 v45, v0, v25
	v_sub_f16_e32 v42, v27, v24
	v_fma_f16 v24, v37, 2.0, -v40
	v_add_f16_e32 v35, v22, v38
	v_sub_f16_e32 v37, v39, v41
	v_fma_f16 v30, v30, 2.0, -v31
	v_add_f16_e32 v33, v15, v33
	v_sub_f16_e32 v19, v29, v19
	v_sub_f16_e32 v38, v43, v44
	v_fma_f16 v26, v26, 2.0, -v36
	v_add_f16_e32 v32, v14, v32
	v_sub_f16_e32 v16, v28, v16
	s_movk_i32 s0, 0x39a8
	v_fma_f16 v5, v17, 2.0, -v0
	v_fma_f16 v0, v0, 2.0, -v45
	v_sub_f16_e32 v23, v34, v23
	v_fma_f16 v22, v22, 2.0, -v35
	v_fma_f16 v41, v39, 2.0, -v37
	;; [unrolled: 1-line block ×7, first 2 shown]
	s_mov_b32 s1, 0xb9a8
	v_mul_f16_e32 v50, 0x39a8, v35
	v_fma_f16 v35, v35, s0, v45
	v_sub_f16_e32 v43, v30, v26
	v_sub_f16_e32 v6, v5, v6
	v_fma_f16 v34, v34, 2.0, -v23
	v_mul_f16_e32 v46, 0x39a8, v22
	v_fma_f16 v22, v22, s1, v0
	v_mul_f16_e32 v51, 0x39a8, v23
	v_fma_f16 v23, v23, s0, v35
	v_sub_f16_e32 v52, v41, v39
	v_fma_f16 v26, v30, 2.0, -v43
	v_fma_f16 v30, v14, s1, v15
	v_fma_f16 v39, v28, s1, v29
	v_fma_f16 v5, v5, 2.0, -v6
	v_fma_f16 v22, v34, s0, v22
	v_fma_f16 v35, v45, 2.0, -v23
	v_fma_f16 v44, v28, s0, v30
	v_fma_f16 v45, v14, s1, v39
	v_add_f16_e32 v14, v31, v38
	v_sub_f16_e32 v24, v5, v24
	v_mul_f16_e32 v48, 0x39a8, v34
	v_fma_f16 v0, v0, 2.0, -v22
	v_add_f16_e32 v34, v6, v42
	v_fma_f16 v53, v15, 2.0, -v44
	v_fma_f16 v28, v31, 2.0, -v14
	v_fma_f16 v30, v32, s0, v33
	v_fma_f16 v31, v16, s0, v19
	s_mov_b32 s8, 0xbb64
	v_fma_f16 v5, v5, 2.0, -v24
	v_fma_f16 v6, v6, 2.0, -v34
	;; [unrolled: 1-line block ×3, first 2 shown]
	v_sub_f16_e32 v15, v37, v36
	v_fma_f16 v47, v16, s0, v30
	v_fma_f16 v49, v32, s1, v31
	;; [unrolled: 1-line block ×3, first 2 shown]
	s_movk_i32 s9, 0x361f
	v_fma_f16 v29, v37, 2.0, -v15
	v_fma_f16 v55, v33, 2.0, -v47
	;; [unrolled: 1-line block ×3, first 2 shown]
	v_sub_f16_e32 v19, v5, v26
	v_fma_f16 v26, v54, s9, v16
	v_fma_f16 v16, v28, s1, v6
	s_mov_b32 s14, 0xb61f
	v_mul_f16_e32 v58, 0x39a8, v28
	v_fma_f16 v28, v29, s0, v16
	v_fma_f16 v16, v55, s14, v35
	s_movk_i32 s15, 0x3b64
	v_mul_f16_e32 v59, 0x39a8, v29
	v_fma_f16 v29, v56, s15, v16
	v_fma_f16 v5, v5, 2.0, -v19
	v_fma_f16 v0, v0, 2.0, -v26
	;; [unrolled: 1-line block ×4, first 2 shown]
	v_pack_b32_f16 v6, v6, v16
	v_pack_b32_f16 v0, v5, v0
	v_lshl_add_u32 v57, v8, 5, 0
	ds_write2_b32 v57, v0, v6 offset1:1
	v_fma_f16 v0, v14, s0, v34
	v_fma_f16 v6, v47, s15, v23
	;; [unrolled: 1-line block ×4, first 2 shown]
	v_fma_f16 v5, v34, 2.0, -v0
	v_fma_f16 v6, v23, 2.0, -v16
	v_pack_b32_f16 v5, v5, v6
	v_fma_f16 v6, v44, s9, v22
	v_add_f16_e32 v30, v24, v52
	v_fma_f16 v6, v45, s15, v6
	v_fma_f16 v24, v24, 2.0, -v30
	v_fma_f16 v22, v22, 2.0, -v6
	v_mul_f16_e32 v60, 0x39a8, v14
	v_pack_b32_f16 v14, v24, v22
	ds_write2_b32 v57, v14, v5 offset0:2 offset1:3
	v_pack_b32_f16 v5, v28, v29
	v_pack_b32_f16 v14, v19, v26
	ds_write2_b32 v57, v14, v5 offset0:4 offset1:5
	v_pack_b32_f16 v0, v0, v16
	v_pack_b32_f16 v5, v30, v6
	s_movk_i32 s0, 0xffe2
	ds_write2_b32 v57, v5, v0 offset0:6 offset1:7
	v_mad_i32_i24 v0, v8, s0, v57
	s_load_dwordx2 s[4:5], s[4:5], 0x0
	s_waitcnt lgkmcnt(0)
	; wave barrier
	s_waitcnt lgkmcnt(0)
	ds_read_u16 v28, v0 offset:512
	ds_read_u16 v29, v0 offset:608
	;; [unrolled: 1-line block ×10, first 2 shown]
	v_mul_f16_e32 v61, 0x39a8, v15
	v_lshl_add_u32 v15, v9, 1, 0
	v_lshl_add_u32 v5, v10, 1, 0
	v_lshl_add_u32 v6, v11, 1, 0
	ds_read_u16 v24, v15
	ds_read_u16 v23, v5
	;; [unrolled: 1-line block ×3, first 2 shown]
	v_lshl_add_u32 v14, v12, 1, 0
	ds_read_u16 v26, v0
	ds_read_u16 v19, v14
	v_mul_i32_i24_e32 v0, 0xffffffe2, v8
	v_cmp_gt_u32_e64 s[0:1], 16, v8
	v_add_u32_e32 v0, v57, v0
	v_lshl_add_u32 v13, v13, 1, 0
                                        ; implicit-def: $vgpr38
                                        ; implicit-def: $vgpr39
	s_and_saveexec_b64 s[6:7], s[0:1]
	s_cbranch_execz .LBB0_15
; %bb.14:
	ds_read_u16 v39, v0 offset:992
	ds_read_u16 v16, v13
	ds_read_u16 v38, v0 offset:1504
.LBB0_15:
	s_or_b64 exec, exec, s[6:7]
	v_lshrrev_b32_e32 v17, 16, v17
	v_sub_f16_e32 v18, v17, v18
	v_fma_f16 v17, v17, 2.0, -v18
	v_fma_f16 v21, v21, 2.0, -v25
	v_sub_f16_e32 v21, v17, v21
	v_sub_f16_e32 v20, v18, v20
	v_fma_f16 v17, v17, 2.0, -v21
	v_fma_f16 v18, v18, 2.0, -v20
	;; [unrolled: 1-line block ×3, first 2 shown]
	v_sub_f16_e32 v25, v17, v25
	v_sub_f16_e32 v27, v18, v48
	v_fma_f16 v17, v17, 2.0, -v25
	v_sub_f16_e32 v27, v27, v46
	v_fma_f16 v41, v41, 2.0, -v52
	v_fma_f16 v18, v18, 2.0, -v27
	v_sub_f16_e32 v40, v21, v40
	v_add_f16_e32 v42, v20, v51
	v_sub_f16_e32 v41, v17, v41
	v_fma_f16 v21, v21, 2.0, -v40
	v_sub_f16_e32 v42, v42, v50
	v_fma_f16 v46, v17, 2.0, -v41
	v_fma_f16 v17, v54, s8, v18
	v_fma_f16 v20, v20, 2.0, -v42
	v_fma_f16 v48, v53, s14, v17
	v_sub_f16_e32 v17, v21, v59
	v_sub_f16_e32 v50, v17, v58
	v_fma_f16 v17, v56, s14, v20
	v_fma_f16 v51, v55, s8, v17
	;; [unrolled: 1-line block ×4, first 2 shown]
	v_add_f16_e32 v17, v40, v61
	v_sub_f16_e32 v45, v17, v60
	v_fma_f16 v17, v49, s15, v42
	v_fma_f16 v18, v18, 2.0, -v48
	v_fma_f16 v21, v21, 2.0, -v50
	v_fma_f16 v20, v20, 2.0, -v51
	v_sub_f16_e32 v43, v25, v43
	v_fma_f16 v17, v47, s14, v17
	v_fma_f16 v25, v25, 2.0, -v43
	v_fma_f16 v27, v27, 2.0, -v44
	;; [unrolled: 1-line block ×4, first 2 shown]
	v_pack_b32_f16 v20, v21, v20
	v_pack_b32_f16 v18, v46, v18
	s_waitcnt lgkmcnt(0)
	; wave barrier
	s_waitcnt lgkmcnt(0)
	ds_write2_b32 v57, v18, v20 offset1:1
	v_pack_b32_f16 v18, v40, v42
	v_pack_b32_f16 v20, v25, v27
	ds_write2_b32 v57, v20, v18 offset0:2 offset1:3
	v_pack_b32_f16 v18, v50, v51
	v_pack_b32_f16 v20, v41, v48
	ds_write2_b32 v57, v20, v18 offset0:4 offset1:5
	;; [unrolled: 3-line block ×3, first 2 shown]
	s_waitcnt lgkmcnt(0)
	; wave barrier
	s_waitcnt lgkmcnt(0)
	ds_read_u16 v43, v0 offset:512
	ds_read_u16 v41, v0 offset:608
	;; [unrolled: 1-line block ×3, first 2 shown]
	ds_read_u16 v25, v15
	ds_read_u16 v21, v5
	;; [unrolled: 1-line block ×3, first 2 shown]
	ds_read_u16 v42, v0 offset:800
	ds_read_u16 v27, v0
	ds_read_u16 v18, v14
	ds_read_u16 v50, v0 offset:1120
	ds_read_u16 v48, v0 offset:1216
	ds_read_u16 v45, v0 offset:1312
	ds_read_u16 v44, v0 offset:1408
	ds_read_u16 v51, v0 offset:1024
	ds_read_u16 v46, v0 offset:896
                                        ; implicit-def: $vgpr47
                                        ; implicit-def: $vgpr49
	s_and_saveexec_b64 s[6:7], s[0:1]
	s_cbranch_execz .LBB0_17
; %bb.16:
	ds_read_u16 v49, v0 offset:992
	ds_read_u16 v17, v13
	ds_read_u16 v47, v0 offset:1504
.LBB0_17:
	s_or_b64 exec, exec, s[6:7]
	v_lshlrev_b32_e32 v52, 3, v8
	v_and_b32_e32 v52, 0x78, v52
	v_and_b32_e32 v61, 15, v8
	global_load_dword v59, v52, s[12:13]
	global_load_dword v53, v52, s[12:13] offset:2
	global_load_dword v60, v52, s[12:13] offset:4
	v_lshlrev_b32_e32 v54, 3, v61
	global_load_ushort v52, v52, s[12:13] offset:6
	s_mov_b32 s8, 0xbaee
	global_load_ushort v62, v54, s[12:13]
	s_movk_i32 s9, 0x3aee
	v_lshrrev_b32_e32 v9, 4, v9
	v_mul_lo_u32 v9, v9, 48
	s_waitcnt lgkmcnt(0)
	; wave barrier
	s_waitcnt lgkmcnt(0)
	v_or_b32_e32 v9, v9, v61
	s_waitcnt vmcnt(4)
	v_mul_f16_sdwa v54, v43, v59 dst_sel:DWORD dst_unused:UNUSED_PAD src0_sel:DWORD src1_sel:WORD_1
	v_mul_f16_sdwa v55, v28, v59 dst_sel:DWORD dst_unused:UNUSED_PAD src0_sel:DWORD src1_sel:WORD_1
	s_waitcnt vmcnt(3)
	v_lshrrev_b32_e32 v63, 16, v53
	s_waitcnt vmcnt(2)
	v_mul_f16_sdwa v56, v51, v60 dst_sel:DWORD dst_unused:UNUSED_PAD src0_sel:DWORD src1_sel:WORD_1
	v_mul_f16_sdwa v58, v37, v60 dst_sel:DWORD dst_unused:UNUSED_PAD src0_sel:DWORD src1_sel:WORD_1
	;; [unrolled: 1-line block ×13, first 2 shown]
	v_mul_f16_e32 v80, v49, v53
	v_mul_f16_e32 v81, v39, v53
	s_waitcnt vmcnt(1)
	v_mul_f16_e32 v82, v47, v52
	v_mul_f16_e32 v83, v38, v52
	s_waitcnt vmcnt(0)
	v_fma_f16 v53, v28, v62, v54
	v_fma_f16 v57, v43, v62, -v55
	v_fma_f16 v55, v37, v63, v56
	v_fma_f16 v58, v51, v63, -v58
	;; [unrolled: 2-line block ×3, first 2 shown]
	v_fma_f16 v52, v36, v63, v66
	v_fma_f16 v41, v30, v62, v68
	;; [unrolled: 1-line block ×3, first 2 shown]
	v_mul_f16_sdwa v73, v31, v59 dst_sel:DWORD dst_unused:UNUSED_PAD src0_sel:DWORD src1_sel:WORD_1
	v_mul_f16_sdwa v74, v45, v60 dst_sel:DWORD dst_unused:UNUSED_PAD src0_sel:DWORD src1_sel:WORD_1
	v_mul_f16_sdwa v75, v32, v60 dst_sel:DWORD dst_unused:UNUSED_PAD src0_sel:DWORD src1_sel:WORD_1
	v_mul_f16_sdwa v78, v44, v60 dst_sel:DWORD dst_unused:UNUSED_PAD src0_sel:DWORD src1_sel:WORD_1
	v_mul_f16_sdwa v79, v33, v60 dst_sel:DWORD dst_unused:UNUSED_PAD src0_sel:DWORD src1_sel:WORD_1
	v_fma_f16 v56, v50, v63, -v67
	v_fma_f16 v50, v40, v62, -v69
	;; [unrolled: 1-line block ×3, first 2 shown]
	v_fma_f16 v34, v31, v62, v72
	v_fma_f16 v28, v35, v62, v76
	v_fma_f16 v35, v46, v62, -v77
	v_fma_f16 v29, v39, v59, v80
	v_fma_f16 v31, v49, v59, -v81
	v_fma_f16 v30, v38, v60, v82
	v_add_f16_e32 v38, v26, v53
	v_add_f16_e32 v39, v53, v55
	;; [unrolled: 1-line block ×4, first 2 shown]
	v_fma_f16 v40, v42, v62, -v73
	v_fma_f16 v36, v32, v63, v74
	v_fma_f16 v42, v45, v63, -v75
	v_fma_f16 v33, v33, v63, v78
	v_fma_f16 v37, v44, v63, -v79
	v_fma_f16 v32, v47, v60, -v83
	v_sub_f16_e32 v44, v57, v58
	v_add_f16_e32 v45, v24, v51
	v_sub_f16_e32 v47, v54, v56
	v_add_f16_e32 v49, v23, v41
	;; [unrolled: 2-line block ×3, first 2 shown]
	v_fma_f16 v26, v39, -0.5, v26
	v_fma_f16 v24, v46, -0.5, v24
	;; [unrolled: 1-line block ×3, first 2 shown]
	v_add_f16_e32 v38, v19, v28
	v_fma_f16 v39, v44, s8, v26
	v_fma_f16 v26, v44, s9, v26
	v_fma_f16 v44, v47, s8, v24
	v_fma_f16 v24, v47, s9, v24
	v_fma_f16 v47, v60, s8, v23
	v_fma_f16 v23, v60, s9, v23
	v_add_f16_e32 v60, v38, v33
	v_add_f16_e32 v38, v28, v33
	;; [unrolled: 1-line block ×3, first 2 shown]
	v_fma_f16 v19, v38, -0.5, v19
	v_sub_f16_e32 v38, v35, v37
	v_add_f16_e32 v46, v49, v43
	v_add_f16_e32 v49, v62, v36
	v_fma_f16 v62, v38, s8, v19
	v_fma_f16 v19, v38, s9, v19
	v_lshrrev_b32_e32 v38, 4, v8
	v_mul_u32_u24_e32 v38, 48, v38
	v_or_b32_e32 v38, v38, v61
	v_lshl_add_u32 v38, v38, 1, 0
	ds_write_b16 v38, v65
	ds_write_b16 v38, v39 offset:32
	ds_write_b16 v38, v26 offset:64
	v_lshl_add_u32 v39, v9, 1, 0
	v_lshrrev_b32_e32 v9, 4, v10
	v_mul_lo_u32 v9, v9, 48
	v_add_f16_e32 v45, v45, v52
	ds_write_b16 v39, v45
	ds_write_b16 v39, v44 offset:32
	ds_write_b16 v39, v24 offset:64
	v_add_f16_e32 v63, v34, v36
	v_or_b32_e32 v9, v9, v61
	v_lshl_add_u32 v44, v9, 1, 0
	v_lshrrev_b32_e32 v9, 4, v11
	v_mul_lo_u32 v9, v9, 48
	ds_write_b16 v44, v46
	ds_write_b16 v44, v47 offset:32
	ds_write_b16 v44, v23 offset:64
	v_sub_f16_e32 v64, v40, v42
	v_fma_f16 v22, v63, -0.5, v22
	v_or_b32_e32 v9, v9, v61
	v_lshl_add_u32 v46, v9, 1, 0
	v_lshrrev_b32_e32 v9, 4, v12
	v_mul_lo_u32 v9, v9, 48
	v_lshl_add_u32 v45, v8, 1, 0
	v_fma_f16 v59, v64, s8, v22
	v_fma_f16 v22, v64, s9, v22
	v_or_b32_e32 v9, v9, v61
	v_lshl_add_u32 v47, v9, 1, 0
	ds_write_b16 v46, v49
	ds_write_b16 v46, v59 offset:32
	ds_write_b16 v46, v22 offset:64
	ds_write_b16 v47, v60
	ds_write_b16 v47, v62 offset:32
	ds_write_b16 v47, v19 offset:64
	s_and_saveexec_b64 s[6:7], s[0:1]
	s_cbranch_execz .LBB0_19
; %bb.18:
	v_add_f16_e32 v9, v29, v30
	v_fma_f16 v9, v9, -0.5, v16
	v_sub_f16_e32 v10, v31, v32
	v_fma_f16 v11, v10, s9, v9
	v_fma_f16 v9, v10, s8, v9
	v_add_f16_e32 v10, v16, v29
	v_add_f16_e32 v10, v10, v30
	ds_write_b16 v45, v10 offset:1440
	ds_write_b16 v45, v9 offset:1472
	;; [unrolled: 1-line block ×3, first 2 shown]
.LBB0_19:
	s_or_b64 exec, exec, s[6:7]
	v_add_f16_e32 v9, v27, v57
	v_add_f16_e32 v49, v9, v58
	v_add_f16_e32 v9, v57, v58
	v_fma_f16 v9, v9, -0.5, v27
	v_sub_f16_e32 v10, v53, v55
	v_fma_f16 v53, v10, s9, v9
	v_fma_f16 v55, v10, s8, v9
	v_add_f16_e32 v9, v25, v54
	v_add_f16_e32 v57, v9, v56
	v_add_f16_e32 v9, v54, v56
	v_fma_f16 v9, v9, -0.5, v25
	v_sub_f16_e32 v10, v51, v52
	v_fma_f16 v51, v10, s9, v9
	v_fma_f16 v52, v10, s8, v9
	;; [unrolled: 7-line block ×5, first 2 shown]
	s_waitcnt lgkmcnt(0)
	; wave barrier
	s_waitcnt lgkmcnt(0)
	ds_read_u16 v16, v15
	ds_read_u16 v21, v5
	;; [unrolled: 1-line block ×3, first 2 shown]
	ds_read_u16 v22, v0 offset:576
	ds_read_u16 v26, v0 offset:672
	;; [unrolled: 1-line block ×3, first 2 shown]
	ds_read_u16 v9, v0
	ds_read_u16 v10, v14
	ds_read_u16 v18, v0 offset:864
	ds_read_u16 v23, v0 offset:960
	;; [unrolled: 1-line block ×6, first 2 shown]
	ds_read_u16 v20, v13
	ds_read_u16 v28, v0 offset:1440
	s_waitcnt lgkmcnt(0)
	; wave barrier
	s_waitcnt lgkmcnt(0)
	ds_write_b16 v38, v49
	ds_write_b16 v38, v53 offset:32
	ds_write_b16 v38, v55 offset:64
	ds_write_b16 v39, v57
	ds_write_b16 v39, v51 offset:32
	ds_write_b16 v39, v52 offset:64
	;; [unrolled: 3-line block ×5, first 2 shown]
	s_and_saveexec_b64 s[6:7], s[0:1]
	s_cbranch_execz .LBB0_21
; %bb.20:
	v_add_f16_e32 v33, v17, v31
	v_add_f16_e32 v31, v31, v32
	v_fma_f16 v17, v31, -0.5, v17
	v_sub_f16_e32 v29, v29, v30
	s_movk_i32 s0, 0x3aee
	v_add_f16_e32 v33, v33, v32
	v_fma_f16 v30, v29, s0, v17
	s_mov_b32 s0, 0xbaee
	v_fma_f16 v17, v29, s0, v17
	ds_write_b16 v45, v33 offset:1440
	ds_write_b16 v45, v30 offset:1472
	;; [unrolled: 1-line block ×3, first 2 shown]
.LBB0_21:
	s_or_b64 exec, exec, s[6:7]
	s_waitcnt lgkmcnt(0)
	; wave barrier
	s_waitcnt lgkmcnt(0)
	s_and_saveexec_b64 s[0:1], vcc
	s_cbranch_execz .LBB0_23
; %bb.22:
	v_mul_u32_u24_e32 v8, 15, v8
	v_lshlrev_b32_e32 v8, 2, v8
	global_load_dwordx4 v[29:32], v8, s[12:13] offset:128
	global_load_dwordx4 v[33:36], v8, s[12:13] offset:160
	;; [unrolled: 1-line block ×3, first 2 shown]
	global_load_dwordx3 v[41:43], v8, s[12:13] offset:176
	v_mul_lo_u32 v8, s5, v3
	v_mul_lo_u32 v17, s4, v4
	v_mad_u64_u32 v[3:4], s[0:1], s4, v3, 0
	ds_read_u16 v15, v15
	ds_read_u16 v44, v0 offset:1248
	ds_read_u16 v14, v14
	ds_read_u16 v6, v6
	ds_read_u16 v5, v5
	ds_read_u16 v13, v13
	ds_read_u16 v45, v0 offset:1440
	ds_read_u16 v46, v0 offset:1344
	;; [unrolled: 1-line block ×9, first 2 shown]
	ds_read_u16 v0, v0
	v_add3_u32 v4, v4, v17, v8
	s_movk_i32 s1, 0x39a8
	s_mov_b32 s0, 0xb9a8
	s_movk_i32 s5, 0x3b64
	s_movk_i32 s4, 0x361f
	s_mov_b32 s7, 0xb61f
	s_mov_b32 s6, 0xbb64
	v_lshlrev_b64 v[3:4], 2, v[3:4]
	s_waitcnt vmcnt(3)
	v_mul_f16_sdwa v8, v16, v29 dst_sel:DWORD dst_unused:UNUSED_PAD src0_sel:DWORD src1_sel:WORD_1
	v_mul_f16_sdwa v63, v25, v31 dst_sel:DWORD dst_unused:UNUSED_PAD src0_sel:DWORD src1_sel:WORD_1
	s_waitcnt lgkmcnt(12)
	v_mul_f16_sdwa v67, v6, v31 dst_sel:DWORD dst_unused:UNUSED_PAD src0_sel:DWORD src1_sel:WORD_1
	v_mul_f16_sdwa v69, v21, v30 dst_sel:DWORD dst_unused:UNUSED_PAD src0_sel:DWORD src1_sel:WORD_1
	s_waitcnt vmcnt(1)
	v_lshrrev_b32_e32 v55, 16, v38
	v_lshrrev_b32_e32 v56, 16, v39
	v_mul_f16_e32 v65, v26, v39
	v_mul_f16_e32 v71, v22, v38
	v_mul_f16_sdwa v74, v10, v32 dst_sel:DWORD dst_unused:UNUSED_PAD src0_sel:DWORD src1_sel:WORD_1
	v_fma_f16 v8, v15, v29, -v8
	v_fma_f16 v6, v6, v31, -v63
	v_fma_f16 v25, v25, v31, v67
	s_waitcnt lgkmcnt(11)
	v_fma_f16 v31, v5, v30, -v69
	v_mul_f16_sdwa v5, v5, v30 dst_sel:DWORD dst_unused:UNUSED_PAD src0_sel:DWORD src1_sel:WORD_1
	v_mul_f16_sdwa v15, v15, v29 dst_sel:DWORD dst_unused:UNUSED_PAD src0_sel:DWORD src1_sel:WORD_1
	v_lshrrev_b32_e32 v54, 16, v37
	v_lshrrev_b32_e32 v57, 16, v40
	s_waitcnt vmcnt(0)
	v_lshrrev_b32_e32 v60, 16, v42
	s_waitcnt lgkmcnt(2)
	v_fma_f16 v63, v52, v56, v65
	v_mul_f16_e32 v26, v26, v56
	s_waitcnt lgkmcnt(1)
	v_fma_f16 v56, v53, v55, v71
	v_fma_f16 v71, v14, v32, -v74
	v_fma_f16 v5, v21, v30, v5
	v_mul_f16_sdwa v21, v49, v34 dst_sel:DWORD dst_unused:UNUSED_PAD src0_sel:DWORD src1_sel:WORD_1
	v_fma_f16 v15, v16, v29, v15
	v_mul_f16_sdwa v16, v50, v33 dst_sel:DWORD dst_unused:UNUSED_PAD src0_sel:DWORD src1_sel:WORD_1
	v_mul_f16_sdwa v14, v14, v32 dst_sel:DWORD dst_unused:UNUSED_PAD src0_sel:DWORD src1_sel:WORD_1
	;; [unrolled: 1-line block ×3, first 2 shown]
	v_mul_f16_e32 v58, v20, v37
	v_lshrrev_b32_e32 v59, 16, v41
	v_lshrrev_b32_e32 v61, 16, v43
	v_mul_f16_e32 v62, v19, v41
	v_mul_f16_sdwa v64, v27, v35 dst_sel:DWORD dst_unused:UNUSED_PAD src0_sel:DWORD src1_sel:WORD_1
	v_mul_f16_e32 v66, v28, v43
	v_mul_f16_sdwa v70, v23, v34 dst_sel:DWORD dst_unused:UNUSED_PAD src0_sel:DWORD src1_sel:WORD_1
	v_mul_f16_e32 v72, v24, v42
	v_mul_f16_e32 v73, v11, v40
	v_fma_f16 v21, v23, v34, v21
	v_mul_f16_e32 v22, v22, v55
	v_mul_f16_e32 v23, v24, v60
	v_fma_f16 v16, v18, v33, v16
	;; [unrolled: 3-line block ×3, first 2 shown]
	v_mul_f16_sdwa v14, v47, v36 dst_sel:DWORD dst_unused:UNUSED_PAD src0_sel:DWORD src1_sel:WORD_1
	v_mul_f16_sdwa v68, v48, v35 dst_sel:DWORD dst_unused:UNUSED_PAD src0_sel:DWORD src1_sel:WORD_1
	v_fma_f16 v17, v50, v33, -v17
	v_fma_f16 v58, v13, v54, v58
	v_fma_f16 v62, v44, v59, v62
	v_fma_f16 v48, v48, v35, -v64
	v_fma_f16 v64, v45, v61, v66
	v_mul_f16_e32 v28, v28, v61
	v_fma_f16 v61, v46, v60, v72
	v_mul_f16_sdwa v72, v12, v36 dst_sel:DWORD dst_unused:UNUSED_PAD src0_sel:DWORD src1_sel:WORD_1
	v_fma_f16 v22, v53, v38, -v22
	v_fma_f16 v23, v46, v42, -v23
	;; [unrolled: 1-line block ×3, first 2 shown]
	v_mul_f16_e32 v18, v19, v59
	v_fma_f16 v11, v51, v40, -v11
	v_fma_f16 v12, v12, v36, v14
	v_fma_f16 v27, v27, v35, v68
	v_sub_f16_e32 v17, v8, v17
	v_sub_f16_e32 v62, v58, v62
	v_fma_f16 v72, v47, v36, -v72
	v_sub_f16_e32 v21, v5, v21
	v_sub_f16_e32 v23, v22, v23
	v_fma_f16 v18, v44, v41, -v18
	s_waitcnt lgkmcnt(0)
	v_sub_f16_e32 v11, v0, v11
	v_sub_f16_e32 v12, v10, v12
	v_fma_f16 v35, v49, v34, -v70
	v_fma_f16 v65, v51, v57, v73
	v_sub_f16_e32 v64, v63, v64
	v_sub_f16_e32 v27, v25, v27
	v_fma_f16 v26, v52, v39, -v26
	v_fma_f16 v28, v45, v43, -v28
	v_sub_f16_e32 v39, v56, v61
	v_sub_f16_e32 v45, v17, v62
	v_sub_f16_e32 v72, v71, v72
	v_add_f16_e32 v24, v21, v23
	v_sub_f16_e32 v16, v15, v16
	v_sub_f16_e32 v18, v13, v18
	;; [unrolled: 1-line block ×7, first 2 shown]
	v_fma_f16 v65, v17, 2.0, -v45
	v_fma_f16 v30, v21, 2.0, -v24
	v_add_f16_e32 v19, v16, v18
	v_fma_f16 v32, v11, 2.0, -v14
	v_fma_f16 v8, v8, 2.0, -v17
	;; [unrolled: 1-line block ×10, first 2 shown]
	v_sub_f16_e32 v13, v8, v13
	v_sub_f16_e32 v18, v17, v18
	v_fma_f16 v9, v9, 2.0, -v43
	v_fma_f16 v10, v10, 2.0, -v12
	v_fma_f16 v12, v31, 2.0, -v35
	v_fma_f16 v22, v22, 2.0, -v23
	v_fma_f16 v15, v15, 2.0, -v16
	v_fma_f16 v16, v58, 2.0, -v62
	v_fma_f16 v6, v6, 2.0, -v48
	v_fma_f16 v26, v26, 2.0, -v28
	v_sub_f16_e32 v11, v0, v11
	v_sub_f16_e32 v21, v5, v21
	;; [unrolled: 1-line block ×3, first 2 shown]
	v_add_f16_e32 v67, v27, v28
	v_add_f16_e32 v73, v43, v72
	v_sub_f16_e32 v25, v13, v18
	v_sub_f16_e32 v10, v9, v10
	;; [unrolled: 1-line block ×7, first 2 shown]
	v_fma_f16 v68, v35, 2.0, -v61
	v_fma_f16 v70, v27, 2.0, -v67
	v_fma_f16 v37, v24, s1, v73
	v_fma_f16 v40, v67, s1, v19
	v_add_f16_e32 v23, v22, v10
	v_add_f16_e32 v27, v16, v26
	v_fma_f16 v35, v25, s1, v31
	v_fma_f16 v37, v61, s1, v37
	;; [unrolled: 1-line block ×7, first 2 shown]
	v_fma_f16 v47, v10, 2.0, -v23
	v_fma_f16 v27, v16, 2.0, -v27
	;; [unrolled: 1-line block ×4, first 2 shown]
	v_fma_f16 v38, v67, s0, v38
	v_fma_f16 v41, v40, s5, v37
	;; [unrolled: 1-line block ×4, first 2 shown]
	v_fma_f16 v25, v13, 2.0, -v25
	v_fma_f16 v48, v27, s0, v47
	v_fma_f16 v49, v11, 2.0, -v31
	v_fma_f16 v69, v66, s0, v65
	v_fma_f16 v34, v30, s0, v74
	;; [unrolled: 1-line block ×12, first 2 shown]
	v_fma_f16 v42, v37, 2.0, -v41
	v_fma_f16 v44, v40, s7, v44
	v_fma_f16 v25, v27, s0, v25
	v_fma_f16 v27, v73, 2.0, -v37
	v_fma_f16 v37, v45, 2.0, -v38
	;; [unrolled: 1-line block ×5, first 2 shown]
	v_fma_f16 v36, v69, s4, v30
	v_fma_f16 v46, v24, 2.0, -v44
	v_fma_f16 v19, v19, 2.0, -v40
	v_fma_f16 v24, v37, s7, v14
	v_fma_f16 v9, v9, 2.0, -v10
	v_sub_f16_e32 v10, v8, v6
	v_fma_f16 v6, v12, 2.0, -v22
	v_fma_f16 v22, v74, 2.0, -v34
	;; [unrolled: 1-line block ×3, first 2 shown]
	v_fma_f16 v33, v29, s4, v34
	v_fma_f16 v36, v29, s6, v36
	;; [unrolled: 1-line block ×4, first 2 shown]
	v_fma_f16 v5, v5, 2.0, -v21
	v_fma_f16 v24, v65, 2.0, -v69
	v_fma_f16 v26, v20, s6, v22
	v_fma_f16 v29, v32, 2.0, -v30
	v_sub_f16_e32 v5, v9, v5
	v_fma_f16 v0, v0, 2.0, -v11
	v_fma_f16 v11, v15, 2.0, -v16
	;; [unrolled: 1-line block ×3, first 2 shown]
	v_fma_f16 v26, v24, s4, v26
	v_fma_f16 v24, v24, s6, v29
	v_add_f16_e32 v13, v10, v5
	v_sub_f16_e32 v6, v0, v6
	v_sub_f16_e32 v12, v11, v12
	v_fma_f16 v20, v20, s7, v24
	v_sub_f16_e32 v15, v6, v12
	v_fma_f16 v18, v5, 2.0, -v13
	v_fma_f16 v24, v29, 2.0, -v20
	;; [unrolled: 1-line block ×5, first 2 shown]
	v_sub_f16_e32 v11, v29, v5
	v_fma_f16 v12, v0, 2.0, -v6
	v_mad_u64_u32 v[5:6], s[0:1], s2, v7, 0
	v_fma_f16 v0, v8, 2.0, -v10
	v_sub_f16_e32 v10, v12, v0
	v_mov_b32_e32 v0, v6
	v_mad_u64_u32 v[8:9], s[0:1], s3, v7, v[0:1]
	v_fma_f16 v43, v30, 2.0, -v36
	v_mov_b32_e32 v0, s11
	v_mov_b32_e32 v6, v8
	v_add_co_u32_e32 v8, vcc, s10, v3
	v_add_u32_e32 v30, 48, v7
	v_addc_co_u32_e32 v4, vcc, v0, v4, vcc
	v_lshlrev_b64 v[0:1], 2, v[1:2]
	v_mad_u64_u32 v[2:3], s[0:1], s2, v30, 0
	v_add_co_u32_e32 v8, vcc, v8, v0
	v_fma_f16 v9, v31, 2.0, -v35
	v_addc_co_u32_e32 v31, vcc, v4, v1, vcc
	v_lshlrev_b64 v[0:1], 2, v[5:6]
	v_mad_u64_u32 v[3:4], s[0:1], s3, v30, v[3:4]
	v_fma_f16 v29, v29, 2.0, -v11
	v_fma_f16 v12, v12, 2.0, -v10
	v_add_co_u32_e32 v0, vcc, v8, v0
	v_addc_co_u32_e32 v1, vcc, v31, v1, vcc
	v_pack_b32_f16 v4, v29, v12
	global_store_dword v[0:1], v4, off
	v_add_u32_e32 v4, 0x60, v7
	v_lshlrev_b64 v[0:1], 2, v[2:3]
	v_mad_u64_u32 v[2:3], s[0:1], s2, v4, 0
	v_add_u32_e32 v12, 0x90, v7
	v_fma_f16 v22, v22, 2.0, -v26
	v_mad_u64_u32 v[3:4], s[0:1], s3, v4, v[3:4]
	v_mad_u64_u32 v[4:5], s[0:1], s2, v12, 0
	v_add_co_u32_e32 v0, vcc, v8, v0
	v_addc_co_u32_e32 v1, vcc, v31, v1, vcc
	v_pack_b32_f16 v6, v22, v24
	global_store_dword v[0:1], v6, off
	v_lshlrev_b64 v[0:1], 2, v[2:3]
	v_mov_b32_e32 v2, v5
	v_mad_u64_u32 v[2:3], s[0:1], s3, v12, v[2:3]
	v_fma_f16 v16, v47, 2.0, -v48
	v_fma_f16 v17, v49, 2.0, -v25
	v_add_co_u32_e32 v0, vcc, v8, v0
	v_addc_co_u32_e32 v1, vcc, v31, v1, vcc
	v_pack_b32_f16 v3, v16, v17
	v_mov_b32_e32 v5, v2
	global_store_dword v[0:1], v3, off
	v_lshlrev_b64 v[0:1], 2, v[4:5]
	v_or_b32_e32 v4, 0xc0, v7
	v_mad_u64_u32 v[2:3], s[0:1], s2, v4, 0
	v_add_u32_e32 v12, 0xf0, v7
	v_fma_f16 v38, v37, s5, v38
	v_mad_u64_u32 v[3:4], s[0:1], s3, v4, v[3:4]
	v_mad_u64_u32 v[4:5], s[0:1], s2, v12, 0
	v_fma_f16 v27, v27, 2.0, -v38
	v_fma_f16 v14, v14, 2.0, -v19
	v_add_co_u32_e32 v0, vcc, v8, v0
	v_addc_co_u32_e32 v1, vcc, v31, v1, vcc
	v_pack_b32_f16 v6, v27, v14
	global_store_dword v[0:1], v6, off
	v_lshlrev_b64 v[0:1], 2, v[2:3]
	v_mov_b32_e32 v2, v5
	v_mad_u64_u32 v[2:3], s[0:1], s3, v12, v[2:3]
	v_add_co_u32_e32 v0, vcc, v8, v0
	v_addc_co_u32_e32 v1, vcc, v31, v1, vcc
	v_pack_b32_f16 v3, v18, v21
	v_mov_b32_e32 v5, v2
	global_store_dword v[0:1], v3, off
	v_lshlrev_b64 v[0:1], 2, v[4:5]
	v_add_u32_e32 v4, 0x120, v7
	v_mad_u64_u32 v[2:3], s[0:1], s2, v4, 0
	v_add_u32_e32 v12, 0x150, v7
	v_fma_f16 v33, v69, s5, v33
	v_mad_u64_u32 v[3:4], s[0:1], s3, v4, v[3:4]
	v_mad_u64_u32 v[4:5], s[0:1], s2, v12, 0
	v_fma_f16 v39, v34, 2.0, -v33
	v_add_co_u32_e32 v0, vcc, v8, v0
	v_addc_co_u32_e32 v1, vcc, v31, v1, vcc
	v_pack_b32_f16 v6, v39, v43
	global_store_dword v[0:1], v6, off
	v_lshlrev_b64 v[0:1], 2, v[2:3]
	v_mov_b32_e32 v2, v5
	v_mad_u64_u32 v[2:3], s[0:1], s3, v12, v[2:3]
	v_fma_f16 v23, v23, 2.0, -v28
	v_add_co_u32_e32 v0, vcc, v8, v0
	v_addc_co_u32_e32 v1, vcc, v31, v1, vcc
	v_pack_b32_f16 v3, v23, v9
	v_mov_b32_e32 v5, v2
	global_store_dword v[0:1], v3, off
	v_lshlrev_b64 v[0:1], 2, v[4:5]
	v_or_b32_e32 v4, 0x180, v7
	v_mad_u64_u32 v[2:3], s[0:1], s2, v4, 0
	v_add_u32_e32 v9, 0x1b0, v7
	v_add_co_u32_e32 v0, vcc, v8, v0
	v_mad_u64_u32 v[3:4], s[0:1], s3, v4, v[3:4]
	v_mad_u64_u32 v[4:5], s[0:1], s2, v9, 0
	v_addc_co_u32_e32 v1, vcc, v31, v1, vcc
	v_pack_b32_f16 v6, v42, v46
	global_store_dword v[0:1], v6, off
	v_lshlrev_b64 v[0:1], 2, v[2:3]
	v_mov_b32_e32 v2, v5
	v_mad_u64_u32 v[2:3], s[0:1], s3, v9, v[2:3]
	v_add_co_u32_e32 v0, vcc, v8, v0
	v_addc_co_u32_e32 v1, vcc, v31, v1, vcc
	v_pack_b32_f16 v3, v11, v10
	v_mov_b32_e32 v5, v2
	global_store_dword v[0:1], v3, off
	v_lshlrev_b64 v[0:1], 2, v[4:5]
	v_add_u32_e32 v4, 0x1e0, v7
	v_mad_u64_u32 v[2:3], s[0:1], s2, v4, 0
	v_add_u32_e32 v9, 0x210, v7
	v_add_co_u32_e32 v0, vcc, v8, v0
	v_mad_u64_u32 v[3:4], s[0:1], s3, v4, v[3:4]
	v_mad_u64_u32 v[4:5], s[0:1], s2, v9, 0
	v_addc_co_u32_e32 v1, vcc, v31, v1, vcc
	v_pack_b32_f16 v6, v26, v20
	global_store_dword v[0:1], v6, off
	v_lshlrev_b64 v[0:1], 2, v[2:3]
	v_mov_b32_e32 v2, v5
	v_mad_u64_u32 v[2:3], s[0:1], s3, v9, v[2:3]
	v_add_co_u32_e32 v0, vcc, v8, v0
	v_addc_co_u32_e32 v1, vcc, v31, v1, vcc
	v_pack_b32_f16 v3, v48, v25
	v_mov_b32_e32 v5, v2
	global_store_dword v[0:1], v3, off
	v_lshlrev_b64 v[0:1], 2, v[4:5]
	v_or_b32_e32 v4, 0x240, v7
	v_mad_u64_u32 v[2:3], s[0:1], s2, v4, 0
	v_add_u32_e32 v9, 0x270, v7
	v_add_co_u32_e32 v0, vcc, v8, v0
	v_mad_u64_u32 v[3:4], s[0:1], s3, v4, v[3:4]
	v_mad_u64_u32 v[4:5], s[0:1], s2, v9, 0
	v_addc_co_u32_e32 v1, vcc, v31, v1, vcc
	v_pack_b32_f16 v6, v38, v19
	global_store_dword v[0:1], v6, off
	v_lshlrev_b64 v[0:1], 2, v[2:3]
	v_mov_b32_e32 v2, v5
	v_mad_u64_u32 v[2:3], s[0:1], s3, v9, v[2:3]
	v_add_co_u32_e32 v0, vcc, v8, v0
	v_addc_co_u32_e32 v1, vcc, v31, v1, vcc
	v_pack_b32_f16 v3, v13, v15
	v_mov_b32_e32 v5, v2
	global_store_dword v[0:1], v3, off
	v_lshlrev_b64 v[0:1], 2, v[4:5]
	v_add_u32_e32 v4, 0x2a0, v7
	v_mad_u64_u32 v[2:3], s[0:1], s2, v4, 0
	v_add_u32_e32 v7, 0x2d0, v7
	v_add_co_u32_e32 v0, vcc, v8, v0
	v_mad_u64_u32 v[3:4], s[0:1], s3, v4, v[3:4]
	v_mad_u64_u32 v[4:5], s[0:1], s2, v7, 0
	v_addc_co_u32_e32 v1, vcc, v31, v1, vcc
	v_pack_b32_f16 v6, v33, v36
	global_store_dword v[0:1], v6, off
	v_lshlrev_b64 v[0:1], 2, v[2:3]
	v_mov_b32_e32 v2, v5
	v_mad_u64_u32 v[2:3], s[0:1], s3, v7, v[2:3]
	v_add_co_u32_e32 v0, vcc, v8, v0
	v_addc_co_u32_e32 v1, vcc, v31, v1, vcc
	v_pack_b32_f16 v3, v28, v35
	v_mov_b32_e32 v5, v2
	global_store_dword v[0:1], v3, off
	v_lshlrev_b64 v[0:1], 2, v[4:5]
	v_pack_b32_f16 v2, v41, v44
	v_add_co_u32_e32 v0, vcc, v8, v0
	v_addc_co_u32_e32 v1, vcc, v31, v1, vcc
	global_store_dword v[0:1], v2, off
.LBB0_23:
	s_endpgm
	.section	.rodata,"a",@progbits
	.p2align	6, 0x0
	.amdhsa_kernel fft_rtc_back_len768_factors_16_3_16_wgs_48_tpt_48_halfLds_half_op_CI_CI_sbrr_dirReg
		.amdhsa_group_segment_fixed_size 0
		.amdhsa_private_segment_fixed_size 0
		.amdhsa_kernarg_size 104
		.amdhsa_user_sgpr_count 6
		.amdhsa_user_sgpr_private_segment_buffer 1
		.amdhsa_user_sgpr_dispatch_ptr 0
		.amdhsa_user_sgpr_queue_ptr 0
		.amdhsa_user_sgpr_kernarg_segment_ptr 1
		.amdhsa_user_sgpr_dispatch_id 0
		.amdhsa_user_sgpr_flat_scratch_init 0
		.amdhsa_user_sgpr_private_segment_size 0
		.amdhsa_uses_dynamic_stack 0
		.amdhsa_system_sgpr_private_segment_wavefront_offset 0
		.amdhsa_system_sgpr_workgroup_id_x 1
		.amdhsa_system_sgpr_workgroup_id_y 0
		.amdhsa_system_sgpr_workgroup_id_z 0
		.amdhsa_system_sgpr_workgroup_info 0
		.amdhsa_system_vgpr_workitem_id 0
		.amdhsa_next_free_vgpr 84
		.amdhsa_next_free_sgpr 32
		.amdhsa_reserve_vcc 1
		.amdhsa_reserve_flat_scratch 0
		.amdhsa_float_round_mode_32 0
		.amdhsa_float_round_mode_16_64 0
		.amdhsa_float_denorm_mode_32 3
		.amdhsa_float_denorm_mode_16_64 3
		.amdhsa_dx10_clamp 1
		.amdhsa_ieee_mode 1
		.amdhsa_fp16_overflow 0
		.amdhsa_exception_fp_ieee_invalid_op 0
		.amdhsa_exception_fp_denorm_src 0
		.amdhsa_exception_fp_ieee_div_zero 0
		.amdhsa_exception_fp_ieee_overflow 0
		.amdhsa_exception_fp_ieee_underflow 0
		.amdhsa_exception_fp_ieee_inexact 0
		.amdhsa_exception_int_div_zero 0
	.end_amdhsa_kernel
	.text
.Lfunc_end0:
	.size	fft_rtc_back_len768_factors_16_3_16_wgs_48_tpt_48_halfLds_half_op_CI_CI_sbrr_dirReg, .Lfunc_end0-fft_rtc_back_len768_factors_16_3_16_wgs_48_tpt_48_halfLds_half_op_CI_CI_sbrr_dirReg
                                        ; -- End function
	.section	.AMDGPU.csdata,"",@progbits
; Kernel info:
; codeLenInByte = 8452
; NumSgprs: 36
; NumVgprs: 84
; ScratchSize: 0
; MemoryBound: 0
; FloatMode: 240
; IeeeMode: 1
; LDSByteSize: 0 bytes/workgroup (compile time only)
; SGPRBlocks: 4
; VGPRBlocks: 20
; NumSGPRsForWavesPerEU: 36
; NumVGPRsForWavesPerEU: 84
; Occupancy: 3
; WaveLimiterHint : 1
; COMPUTE_PGM_RSRC2:SCRATCH_EN: 0
; COMPUTE_PGM_RSRC2:USER_SGPR: 6
; COMPUTE_PGM_RSRC2:TRAP_HANDLER: 0
; COMPUTE_PGM_RSRC2:TGID_X_EN: 1
; COMPUTE_PGM_RSRC2:TGID_Y_EN: 0
; COMPUTE_PGM_RSRC2:TGID_Z_EN: 0
; COMPUTE_PGM_RSRC2:TIDIG_COMP_CNT: 0
	.type	__hip_cuid_ce9b4e325a774d73,@object ; @__hip_cuid_ce9b4e325a774d73
	.section	.bss,"aw",@nobits
	.globl	__hip_cuid_ce9b4e325a774d73
__hip_cuid_ce9b4e325a774d73:
	.byte	0                               ; 0x0
	.size	__hip_cuid_ce9b4e325a774d73, 1

	.ident	"AMD clang version 19.0.0git (https://github.com/RadeonOpenCompute/llvm-project roc-6.4.0 25133 c7fe45cf4b819c5991fe208aaa96edf142730f1d)"
	.section	".note.GNU-stack","",@progbits
	.addrsig
	.addrsig_sym __hip_cuid_ce9b4e325a774d73
	.amdgpu_metadata
---
amdhsa.kernels:
  - .args:
      - .actual_access:  read_only
        .address_space:  global
        .offset:         0
        .size:           8
        .value_kind:     global_buffer
      - .offset:         8
        .size:           8
        .value_kind:     by_value
      - .actual_access:  read_only
        .address_space:  global
        .offset:         16
        .size:           8
        .value_kind:     global_buffer
      - .actual_access:  read_only
        .address_space:  global
        .offset:         24
        .size:           8
        .value_kind:     global_buffer
      - .actual_access:  read_only
        .address_space:  global
        .offset:         32
        .size:           8
        .value_kind:     global_buffer
      - .offset:         40
        .size:           8
        .value_kind:     by_value
      - .actual_access:  read_only
        .address_space:  global
        .offset:         48
        .size:           8
        .value_kind:     global_buffer
      - .actual_access:  read_only
        .address_space:  global
        .offset:         56
        .size:           8
        .value_kind:     global_buffer
      - .offset:         64
        .size:           4
        .value_kind:     by_value
      - .actual_access:  read_only
        .address_space:  global
        .offset:         72
        .size:           8
        .value_kind:     global_buffer
      - .actual_access:  read_only
        .address_space:  global
        .offset:         80
        .size:           8
        .value_kind:     global_buffer
      - .actual_access:  read_only
        .address_space:  global
        .offset:         88
        .size:           8
        .value_kind:     global_buffer
      - .actual_access:  write_only
        .address_space:  global
        .offset:         96
        .size:           8
        .value_kind:     global_buffer
    .group_segment_fixed_size: 0
    .kernarg_segment_align: 8
    .kernarg_segment_size: 104
    .language:       OpenCL C
    .language_version:
      - 2
      - 0
    .max_flat_workgroup_size: 48
    .name:           fft_rtc_back_len768_factors_16_3_16_wgs_48_tpt_48_halfLds_half_op_CI_CI_sbrr_dirReg
    .private_segment_fixed_size: 0
    .sgpr_count:     36
    .sgpr_spill_count: 0
    .symbol:         fft_rtc_back_len768_factors_16_3_16_wgs_48_tpt_48_halfLds_half_op_CI_CI_sbrr_dirReg.kd
    .uniform_work_group_size: 1
    .uses_dynamic_stack: false
    .vgpr_count:     84
    .vgpr_spill_count: 0
    .wavefront_size: 64
amdhsa.target:   amdgcn-amd-amdhsa--gfx906
amdhsa.version:
  - 1
  - 2
...

	.end_amdgpu_metadata
